;; amdgpu-corpus repo=ROCm/rocFFT kind=compiled arch=gfx1030 opt=O3
	.text
	.amdgcn_target "amdgcn-amd-amdhsa--gfx1030"
	.amdhsa_code_object_version 6
	.protected	fft_rtc_back_len1275_factors_17_3_5_5_wgs_255_tpt_85_halfLds_half_ip_CI_unitstride_sbrr_dirReg ; -- Begin function fft_rtc_back_len1275_factors_17_3_5_5_wgs_255_tpt_85_halfLds_half_ip_CI_unitstride_sbrr_dirReg
	.globl	fft_rtc_back_len1275_factors_17_3_5_5_wgs_255_tpt_85_halfLds_half_ip_CI_unitstride_sbrr_dirReg
	.p2align	8
	.type	fft_rtc_back_len1275_factors_17_3_5_5_wgs_255_tpt_85_halfLds_half_ip_CI_unitstride_sbrr_dirReg,@function
fft_rtc_back_len1275_factors_17_3_5_5_wgs_255_tpt_85_halfLds_half_ip_CI_unitstride_sbrr_dirReg: ; @fft_rtc_back_len1275_factors_17_3_5_5_wgs_255_tpt_85_halfLds_half_ip_CI_unitstride_sbrr_dirReg
; %bb.0:
	s_load_dwordx4 s[8:11], s[4:5], 0x0
	v_mul_u32_u24_e32 v1, 0x304, v0
	s_clause 0x1
	s_load_dwordx2 s[2:3], s[4:5], 0x50
	s_load_dwordx2 s[12:13], s[4:5], 0x18
	v_mov_b32_e32 v6, 0
	v_lshrrev_b32_e32 v1, 16, v1
	v_mad_u64_u32 v[4:5], null, s6, 3, v[1:2]
	v_mov_b32_e32 v5, v6
	v_mov_b32_e32 v1, 0
	;; [unrolled: 1-line block ×5, first 2 shown]
	s_waitcnt lgkmcnt(0)
	v_cmp_lt_u64_e64 s0, s[10:11], 2
	s_and_b32 vcc_lo, exec_lo, s0
	s_cbranch_vccnz .LBB0_8
; %bb.1:
	s_load_dwordx2 s[0:1], s[4:5], 0x10
	v_mov_b32_e32 v1, 0
	v_mov_b32_e32 v9, v5
	s_add_u32 s6, s12, 8
	v_mov_b32_e32 v2, 0
	v_mov_b32_e32 v8, v4
	s_addc_u32 s7, s13, 0
	s_mov_b64 s[16:17], 1
	s_waitcnt lgkmcnt(0)
	s_add_u32 s14, s0, 8
	s_addc_u32 s15, s1, 0
.LBB0_2:                                ; =>This Inner Loop Header: Depth=1
	s_load_dwordx2 s[18:19], s[14:15], 0x0
                                        ; implicit-def: $vgpr10_vgpr11
	s_mov_b32 s0, exec_lo
	s_waitcnt lgkmcnt(0)
	v_or_b32_e32 v7, s19, v9
	v_cmpx_ne_u64_e32 0, v[6:7]
	s_xor_b32 s1, exec_lo, s0
	s_cbranch_execz .LBB0_4
; %bb.3:                                ;   in Loop: Header=BB0_2 Depth=1
	v_cvt_f32_u32_e32 v3, s18
	v_cvt_f32_u32_e32 v5, s19
	s_sub_u32 s0, 0, s18
	s_subb_u32 s20, 0, s19
	v_fmac_f32_e32 v3, 0x4f800000, v5
	v_rcp_f32_e32 v3, v3
	v_mul_f32_e32 v3, 0x5f7ffffc, v3
	v_mul_f32_e32 v5, 0x2f800000, v3
	v_trunc_f32_e32 v5, v5
	v_fmac_f32_e32 v3, 0xcf800000, v5
	v_cvt_u32_f32_e32 v5, v5
	v_cvt_u32_f32_e32 v3, v3
	v_mul_lo_u32 v7, s0, v5
	v_mul_hi_u32 v10, s0, v3
	v_mul_lo_u32 v11, s20, v3
	v_add_nc_u32_e32 v7, v10, v7
	v_mul_lo_u32 v10, s0, v3
	v_add_nc_u32_e32 v7, v7, v11
	v_mul_hi_u32 v11, v3, v10
	v_mul_lo_u32 v12, v3, v7
	v_mul_hi_u32 v13, v3, v7
	v_mul_hi_u32 v14, v5, v10
	v_mul_lo_u32 v10, v5, v10
	v_mul_hi_u32 v15, v5, v7
	v_mul_lo_u32 v7, v5, v7
	v_add_co_u32 v11, vcc_lo, v11, v12
	v_add_co_ci_u32_e32 v12, vcc_lo, 0, v13, vcc_lo
	v_add_co_u32 v10, vcc_lo, v11, v10
	v_add_co_ci_u32_e32 v10, vcc_lo, v12, v14, vcc_lo
	v_add_co_ci_u32_e32 v11, vcc_lo, 0, v15, vcc_lo
	v_add_co_u32 v7, vcc_lo, v10, v7
	v_add_co_ci_u32_e32 v10, vcc_lo, 0, v11, vcc_lo
	v_add_co_u32 v3, vcc_lo, v3, v7
	v_add_co_ci_u32_e32 v5, vcc_lo, v5, v10, vcc_lo
	v_mul_hi_u32 v7, s0, v3
	v_mul_lo_u32 v11, s20, v3
	v_mul_lo_u32 v10, s0, v5
	v_add_nc_u32_e32 v7, v7, v10
	v_mul_lo_u32 v10, s0, v3
	v_add_nc_u32_e32 v7, v7, v11
	v_mul_hi_u32 v11, v3, v10
	v_mul_lo_u32 v12, v3, v7
	v_mul_hi_u32 v13, v3, v7
	v_mul_hi_u32 v14, v5, v10
	v_mul_lo_u32 v10, v5, v10
	v_mul_hi_u32 v15, v5, v7
	v_mul_lo_u32 v7, v5, v7
	v_add_co_u32 v11, vcc_lo, v11, v12
	v_add_co_ci_u32_e32 v12, vcc_lo, 0, v13, vcc_lo
	v_add_co_u32 v10, vcc_lo, v11, v10
	v_add_co_ci_u32_e32 v10, vcc_lo, v12, v14, vcc_lo
	v_add_co_ci_u32_e32 v11, vcc_lo, 0, v15, vcc_lo
	v_add_co_u32 v7, vcc_lo, v10, v7
	v_add_co_ci_u32_e32 v10, vcc_lo, 0, v11, vcc_lo
	v_add_co_u32 v3, vcc_lo, v3, v7
	v_add_co_ci_u32_e32 v5, vcc_lo, v5, v10, vcc_lo
	v_mul_hi_u32 v7, v8, v3
	v_mad_u64_u32 v[12:13], null, v9, v3, 0
	v_mad_u64_u32 v[10:11], null, v8, v5, 0
	v_mad_u64_u32 v[14:15], null, v9, v5, 0
	v_add_co_u32 v3, vcc_lo, v7, v10
	v_add_co_ci_u32_e32 v5, vcc_lo, 0, v11, vcc_lo
	v_add_co_u32 v3, vcc_lo, v3, v12
	v_add_co_ci_u32_e32 v3, vcc_lo, v5, v13, vcc_lo
	v_add_co_ci_u32_e32 v5, vcc_lo, 0, v15, vcc_lo
	v_add_co_u32 v3, vcc_lo, v3, v14
	v_add_co_ci_u32_e32 v5, vcc_lo, 0, v5, vcc_lo
	v_mul_lo_u32 v7, s19, v3
	v_mad_u64_u32 v[10:11], null, s18, v3, 0
	v_mul_lo_u32 v12, s18, v5
	v_sub_co_u32 v10, vcc_lo, v8, v10
	v_add3_u32 v7, v11, v12, v7
	v_sub_nc_u32_e32 v11, v9, v7
	v_subrev_co_ci_u32_e64 v11, s0, s19, v11, vcc_lo
	v_add_co_u32 v12, s0, v3, 2
	v_add_co_ci_u32_e64 v13, s0, 0, v5, s0
	v_sub_co_u32 v14, s0, v10, s18
	v_sub_co_ci_u32_e32 v7, vcc_lo, v9, v7, vcc_lo
	v_subrev_co_ci_u32_e64 v11, s0, 0, v11, s0
	v_cmp_le_u32_e32 vcc_lo, s18, v14
	v_cmp_eq_u32_e64 s0, s19, v7
	v_cndmask_b32_e64 v14, 0, -1, vcc_lo
	v_cmp_le_u32_e32 vcc_lo, s19, v11
	v_cndmask_b32_e64 v15, 0, -1, vcc_lo
	v_cmp_le_u32_e32 vcc_lo, s18, v10
	;; [unrolled: 2-line block ×3, first 2 shown]
	v_cndmask_b32_e64 v16, 0, -1, vcc_lo
	v_cmp_eq_u32_e32 vcc_lo, s19, v11
	v_cndmask_b32_e64 v7, v16, v10, s0
	v_cndmask_b32_e32 v11, v15, v14, vcc_lo
	v_add_co_u32 v14, vcc_lo, v3, 1
	v_add_co_ci_u32_e32 v15, vcc_lo, 0, v5, vcc_lo
	v_cmp_ne_u32_e32 vcc_lo, 0, v11
	v_cndmask_b32_e32 v10, v15, v13, vcc_lo
	v_cndmask_b32_e32 v12, v14, v12, vcc_lo
	v_cmp_ne_u32_e32 vcc_lo, 0, v7
	v_cndmask_b32_e32 v11, v5, v10, vcc_lo
	v_cndmask_b32_e32 v10, v3, v12, vcc_lo
.LBB0_4:                                ;   in Loop: Header=BB0_2 Depth=1
	s_andn2_saveexec_b32 s0, s1
	s_cbranch_execz .LBB0_6
; %bb.5:                                ;   in Loop: Header=BB0_2 Depth=1
	v_cvt_f32_u32_e32 v3, s18
	s_sub_i32 s1, 0, s18
	v_mov_b32_e32 v11, v6
	v_rcp_iflag_f32_e32 v3, v3
	v_mul_f32_e32 v3, 0x4f7ffffe, v3
	v_cvt_u32_f32_e32 v3, v3
	v_mul_lo_u32 v5, s1, v3
	v_mul_hi_u32 v5, v3, v5
	v_add_nc_u32_e32 v3, v3, v5
	v_mul_hi_u32 v3, v8, v3
	v_mul_lo_u32 v5, v3, s18
	v_add_nc_u32_e32 v7, 1, v3
	v_sub_nc_u32_e32 v5, v8, v5
	v_subrev_nc_u32_e32 v10, s18, v5
	v_cmp_le_u32_e32 vcc_lo, s18, v5
	v_cndmask_b32_e32 v5, v5, v10, vcc_lo
	v_cndmask_b32_e32 v3, v3, v7, vcc_lo
	v_cmp_le_u32_e32 vcc_lo, s18, v5
	v_add_nc_u32_e32 v7, 1, v3
	v_cndmask_b32_e32 v10, v3, v7, vcc_lo
.LBB0_6:                                ;   in Loop: Header=BB0_2 Depth=1
	s_or_b32 exec_lo, exec_lo, s0
	s_load_dwordx2 s[0:1], s[6:7], 0x0
	v_mul_lo_u32 v3, v11, s18
	v_mul_lo_u32 v5, v10, s19
	v_mad_u64_u32 v[12:13], null, v10, s18, 0
	s_add_u32 s16, s16, 1
	s_addc_u32 s17, s17, 0
	s_add_u32 s6, s6, 8
	s_addc_u32 s7, s7, 0
	;; [unrolled: 2-line block ×3, first 2 shown]
	v_add3_u32 v3, v13, v5, v3
	v_sub_co_u32 v5, vcc_lo, v8, v12
	v_sub_co_ci_u32_e32 v3, vcc_lo, v9, v3, vcc_lo
	s_waitcnt lgkmcnt(0)
	v_mul_lo_u32 v7, s1, v5
	v_mul_lo_u32 v3, s0, v3
	v_mad_u64_u32 v[1:2], null, s0, v5, v[1:2]
	v_cmp_ge_u64_e64 s0, s[16:17], s[10:11]
	s_and_b32 vcc_lo, exec_lo, s0
	v_add3_u32 v2, v7, v2, v3
	s_cbranch_vccnz .LBB0_8
; %bb.7:                                ;   in Loop: Header=BB0_2 Depth=1
	v_mov_b32_e32 v8, v10
	v_mov_b32_e32 v9, v11
	s_branch .LBB0_2
.LBB0_8:
	s_lshl_b64 s[0:1], s[10:11], 3
	v_mul_hi_u32 v3, 0x3030304, v0
	s_add_u32 s0, s12, s0
	s_addc_u32 s1, s13, s1
                                        ; implicit-def: $vgpr49
                                        ; implicit-def: $vgpr28
                                        ; implicit-def: $vgpr47
                                        ; implicit-def: $vgpr29
                                        ; implicit-def: $vgpr45
                                        ; implicit-def: $vgpr30
                                        ; implicit-def: $vgpr43
                                        ; implicit-def: $vgpr31
                                        ; implicit-def: $vgpr42
                                        ; implicit-def: $vgpr32
                                        ; implicit-def: $vgpr41
                                        ; implicit-def: $vgpr33
                                        ; implicit-def: $vgpr39
                                        ; implicit-def: $vgpr34
                                        ; implicit-def: $vgpr35
                                        ; implicit-def: $vgpr40
                                        ; implicit-def: $vgpr8
                                        ; implicit-def: $vgpr54
                                        ; implicit-def: $vgpr9
                                        ; implicit-def: $vgpr53
                                        ; implicit-def: $vgpr25
                                        ; implicit-def: $vgpr52
                                        ; implicit-def: $vgpr26
                                        ; implicit-def: $vgpr51
                                        ; implicit-def: $vgpr27
                                        ; implicit-def: $vgpr50
                                        ; implicit-def: $vgpr36
                                        ; implicit-def: $vgpr48
                                        ; implicit-def: $vgpr37
                                        ; implicit-def: $vgpr46
                                        ; implicit-def: $vgpr38
                                        ; implicit-def: $vgpr44
	s_load_dwordx2 s[0:1], s[0:1], 0x0
	s_load_dwordx2 s[4:5], s[4:5], 0x20
	v_mul_u32_u24_e32 v3, 0x55, v3
	v_sub_nc_u32_e32 v0, v0, v3
	s_waitcnt lgkmcnt(0)
	v_mul_lo_u32 v5, s0, v11
	v_mul_lo_u32 v6, s1, v10
	v_mad_u64_u32 v[1:2], null, s0, v10, v[1:2]
	v_cmp_gt_u64_e32 vcc_lo, s[4:5], v[10:11]
	v_cmp_gt_u32_e64 s0, 0x4b, v0
	s_and_b32 s1, vcc_lo, s0
	v_add3_u32 v2, v6, v2, v5
	v_mov_b32_e32 v5, 0
	v_mov_b32_e32 v6, 0
	v_lshlrev_b64 v[2:3], 2, v[1:2]
	s_and_saveexec_b32 s4, s1
	s_cbranch_execz .LBB0_10
; %bb.9:
	v_mov_b32_e32 v1, 0
	v_lshlrev_b64 v[5:6], 2, v[0:1]
	v_add_co_u32 v1, s1, s2, v2
	v_add_co_ci_u32_e64 v8, s1, s3, v3, s1
	v_add_co_u32 v7, s1, v1, v5
	v_add_co_ci_u32_e64 v8, s1, v8, v6, s1
	;; [unrolled: 2-line block ×3, first 2 shown]
	s_clause 0x7
	global_load_dword v6, v[7:8], off
	global_load_dword v28, v[7:8], off offset:300
	global_load_dword v29, v[7:8], off offset:600
	;; [unrolled: 1-line block ×7, first 2 shown]
	v_add_co_u32 v7, s1, 0x1000, v7
	v_add_co_ci_u32_e64 v8, s1, 0, v8, s1
	s_clause 0x8
	global_load_dword v40, v[9:10], off offset:352
	global_load_dword v44, v[9:10], off offset:652
	;; [unrolled: 1-line block ×9, first 2 shown]
	s_waitcnt vmcnt(16)
	v_lshrrev_b32_e32 v5, 16, v6
	s_waitcnt vmcnt(15)
	v_lshrrev_b32_e32 v49, 16, v28
	;; [unrolled: 2-line block ×17, first 2 shown]
.LBB0_10:
	s_or_b32 exec_lo, exec_lo, s4
	v_mul_hi_u32 v1, 0xaaaaaaab, v4
	v_lshrrev_b32_e32 v1, 1, v1
	v_lshl_add_u32 v1, v1, 1, v1
	v_sub_nc_u32_e32 v1, v4, v1
	v_mul_u32_u24_e32 v1, 0x4fb, v1
	v_lshlrev_b32_e32 v1, 1, v1
	s_and_saveexec_b32 s1, s0
	s_cbranch_execz .LBB0_12
; %bb.11:
	v_sub_f16_e32 v4, v49, v8
	v_add_f16_e32 v7, v28, v54
	v_sub_f16_e32 v11, v47, v9
	v_add_f16_e32 v13, v29, v53
	v_sub_f16_e32 v12, v45, v25
	v_pk_mul_f16 v21, 0xbbf7bb29, v4 op_sel_hi:[1,0]
	v_pk_mul_f16 v15, 0xb964b5c8, v4 op_sel_hi:[1,0]
	;; [unrolled: 1-line block ×3, first 2 shown]
	v_add_f16_e32 v14, v30, v52
	v_sub_f16_e32 v17, v43, v26
	v_pk_fma_f16 v56, 0x2de83722, v7, v21 op_sel_hi:[1,0,1]
	v_pk_mul_f16 v18, 0xbbf7b964, v11 op_sel_hi:[1,0]
	v_pk_fma_f16 v10, 0x39e93b76, v7, v15 op_sel_hi:[1,0,1]
	v_pk_fma_f16 v58, 0xbbddb8d2, v13, v55 op_sel_hi:[1,0,1]
	v_pk_mul_f16 v59, 0x3bb231e1, v12 op_sel_hi:[1,0]
	v_pk_add_f16 v56, v6, v56 op_sel_hi:[0,1]
	v_add_f16_e32 v16, v31, v51
	v_pk_mul_f16 v20, 0xba62bb29, v12 op_sel_hi:[1,0]
	v_pk_fma_f16 v22, 0x2de839e9, v13, v18 op_sel_hi:[1,0,1]
	v_pk_add_f16 v10, v6, v10 op_sel_hi:[0,1]
	v_pk_add_f16 v56, v56, v58
	v_pk_fma_f16 v58, 0xb461bbdd, v14, v59 op_sel_hi:[1,0,1]
	v_pk_mul_f16 v61, 0x35c83bb2, v17 op_sel_hi:[1,0]
	v_sub_f16_e32 v23, v42, v27
	v_pk_mul_f16 v24, 0xb1e1bbf7, v17 op_sel_hi:[1,0]
	v_pk_fma_f16 v57, 0xb8d23722, v14, v20 op_sel_hi:[1,0,1]
	v_pk_add_f16 v10, v10, v22
	v_pk_add_f16 v56, v56, v58
	v_pk_fma_f16 v58, 0x3b76b461, v16, v61 op_sel_hi:[1,0,1]
	v_add_f16_e32 v19, v32, v50
	v_pk_mul_f16 v22, 0x3836bbb2, v23 op_sel_hi:[1,0]
	v_pk_fma_f16 v60, 0xbbdd2de8, v16, v24 op_sel_hi:[1,0,1]
	v_pk_add_f16 v10, v10, v57
	v_pk_add_f16 v56, v56, v58
	v_pk_mul_f16 v58, 0xba62bbb2, v4 op_sel_hi:[1,0]
	v_pk_fma_f16 v57, 0xbacdb461, v19, v22 op_sel_hi:[1,0,1]
	v_pk_mul_f16 v70, 0x3bb23836, v11 op_sel_hi:[1,0]
	v_pk_add_f16 v10, v10, v60
	v_sub_f16_e32 v60, v41, v36
	v_pk_fma_f16 v69, 0xb8d2b461, v7, v58 op_sel_hi:[1,0,1]
	v_add_f16_e32 v62, v33, v48
	v_pk_mul_f16 v63, 0xbb293964, v23 op_sel_hi:[1,0]
	v_pk_add_f16 v10, v10, v57
	v_pk_mul_f16 v57, 0x3bb2ba62, v60 op_sel_hi:[1,0]
	v_sub_f16_e32 v64, v39, v37
	v_pk_add_f16 v69, v6, v69 op_sel_hi:[0,1]
	v_pk_fma_f16 v72, 0xb461bacd, v13, v70 op_sel_hi:[1,0,1]
	v_pk_mul_f16 v73, 0xb5c83964, v12 op_sel_hi:[1,0]
	v_pk_fma_f16 v65, 0x372239e9, v19, v63 op_sel_hi:[1,0,1]
	v_pk_mul_f16 v66, 0xb836b5c8, v60 op_sel_hi:[1,0]
	v_pk_fma_f16 v67, 0xb461b8d2, v62, v57 op_sel_hi:[1,0,1]
	v_add_f16_e32 v68, v34, v46
	v_pk_mul_f16 v71, 0x3b29b836, v64 op_sel_hi:[1,0]
	v_pk_add_f16 v69, v69, v72
	v_pk_fma_f16 v72, 0x3b7639e9, v14, v73 op_sel_hi:[1,0,1]
	v_pk_mul_f16 v75, 0xb836bb29, v17 op_sel_hi:[1,0]
	v_pk_add_f16 v56, v56, v65
	v_pk_fma_f16 v65, 0xbacd3b76, v62, v66 op_sel_hi:[1,0,1]
	;; [unrolled: 3-line block ×3, first 2 shown]
	v_sub_f16_e32 v76, v35, v38
	v_pk_add_f16 v69, v69, v72
	v_pk_fma_f16 v72, 0xbacd3722, v16, v75 op_sel_hi:[1,0,1]
	v_pk_mul_f16 v77, 0x3bf7b1e1, v23 op_sel_hi:[1,0]
	v_pk_add_f16 v56, v56, v65
	v_pk_fma_f16 v65, 0xb8d22de8, v68, v74 op_sel_hi:[1,0,1]
	v_pk_add_f16 v10, v10, v67
	v_add_f16_e32 v67, v40, v44
	v_pk_mul_f16 v78, 0x35c8b1e1, v76 op_sel_hi:[1,0]
	v_pk_add_f16 v69, v69, v72
	v_pk_fma_f16 v72, 0x2de8bbdd, v19, v77 op_sel_hi:[1,0,1]
	v_pk_mul_f16 v79, 0xb9643bf7, v60 op_sel_hi:[1,0]
	v_pk_add_f16 v56, v56, v65
	v_pk_mul_f16 v65, 0x3964b836, v76 op_sel_hi:[1,0]
	v_pk_fma_f16 v80, 0x3b76bbdd, v67, v78 op_sel_hi:[1,0,1]
	v_pk_add_f16 v69, v69, v72
	v_pk_fma_f16 v72, 0x39e92de8, v62, v79 op_sel_hi:[1,0,1]
	v_pk_mul_f16 v81, 0xb1e1b5c8, v64 op_sel_hi:[1,0]
	v_pk_mul_f16 v4, 0xb1e1b836, v4 op_sel_hi:[1,0]
	v_pk_fma_f16 v82, 0x39e9bacd, v67, v65 op_sel_hi:[1,0,1]
	v_pk_add_f16 v10, v10, v80
	v_pk_add_f16 v69, v69, v72
	v_pk_fma_f16 v72, 0xbbdd3b76, v68, v81 op_sel_hi:[1,0,1]
	v_pk_mul_f16 v80, 0x3b29ba62, v76 op_sel_hi:[1,0]
	v_pk_fma_f16 v83, 0xbbddbacd, v7, v4 op_sel_hi:[1,0,1]
	v_pk_mul_f16 v84, 0x35c83b29, v11 op_sel_hi:[1,0]
	v_pk_add_f16 v11, v56, v82
	v_pk_add_f16 v56, v69, v72
	v_pk_fma_f16 v69, 0x3722b8d2, v67, v80 op_sel_hi:[1,0,1]
	v_pk_add_f16 v72, v6, v83 op_sel_hi:[0,1]
	v_pk_fma_f16 v82, 0x3b763722, v13, v84 op_sel_hi:[1,0,1]
	v_pk_mul_f16 v83, 0xb836bbf7, v12 op_sel_hi:[1,0]
	v_add_f16_e32 v85, v6, v28
	v_pk_add_f16 v12, v56, v69
	v_pk_fma_f16 v4, 0xbbddbacd, v7, v4 op_sel_hi:[1,0,1] neg_lo:[0,0,1] neg_hi:[0,0,1]
	v_pk_add_f16 v56, v72, v82
	v_pk_fma_f16 v69, 0xbacd2de8, v14, v83 op_sel_hi:[1,0,1]
	v_add_f16_e32 v72, v85, v29
	v_pk_mul_f16 v17, 0x39643a62, v17 op_sel_hi:[1,0]
	v_pk_add_f16 v4, v6, v4 op_sel_hi:[0,1]
	v_pk_fma_f16 v82, 0x3b763722, v13, v84 op_sel_hi:[1,0,1] neg_lo:[0,0,1] neg_hi:[0,0,1]
	v_pk_add_f16 v56, v56, v69
	v_add_f16_e32 v69, v72, v30
	v_pk_fma_f16 v72, 0x39e9b8d2, v16, v17 op_sel_hi:[1,0,1]
	v_pk_mul_f16 v23, 0xba62b5c8, v23 op_sel_hi:[1,0]
	v_pk_add_f16 v4, v4, v82
	v_pk_fma_f16 v82, 0xbacd2de8, v14, v83 op_sel_hi:[1,0,1] neg_lo:[0,0,1] neg_hi:[0,0,1]
	v_add_f16_e32 v69, v69, v31
	v_pk_add_f16 v56, v56, v72
	v_pk_fma_f16 v72, 0xb8d23b76, v19, v23 op_sel_hi:[1,0,1]
	v_pk_mul_f16 v60, 0x3b29b1e1, v60 op_sel_hi:[1,0]
	v_pk_add_f16 v4, v4, v82
	v_add_f16_e32 v69, v69, v32
	v_pk_fma_f16 v17, 0x39e9b8d2, v16, v17 op_sel_hi:[1,0,1] neg_lo:[0,0,1] neg_hi:[0,0,1]
	v_pk_add_f16 v56, v56, v72
	v_pk_fma_f16 v72, 0x3722bbdd, v62, v60 op_sel_hi:[1,0,1]
	v_pk_mul_f16 v64, 0xbbb23964, v64 op_sel_hi:[1,0]
	v_add_f16_e32 v69, v69, v33
	v_pk_add_f16 v4, v4, v17
	v_pk_fma_f16 v17, 0xb8d23b76, v19, v23 op_sel_hi:[1,0,1] neg_lo:[0,0,1] neg_hi:[0,0,1]
	v_pk_add_f16 v23, v56, v72
	v_pk_fma_f16 v56, 0xb46139e9, v68, v64 op_sel_hi:[1,0,1]
	v_add_f16_e32 v69, v69, v34
	v_pk_fma_f16 v58, 0xb8d2b461, v7, v58 op_sel_hi:[1,0,1] neg_lo:[0,0,1] neg_hi:[0,0,1]
	v_pk_add_f16 v4, v4, v17
	v_pk_fma_f16 v17, 0x3722bbdd, v62, v60 op_sel_hi:[1,0,1] neg_lo:[0,0,1] neg_hi:[0,0,1]
	v_pk_add_f16 v23, v23, v56
	v_add_f16_e32 v56, v69, v40
	v_pk_fma_f16 v21, 0x2de83722, v7, v21 op_sel_hi:[1,0,1] neg_lo:[0,0,1] neg_hi:[0,0,1]
	v_pk_fma_f16 v7, 0x39e93b76, v7, v15 op_sel_hi:[1,0,1] neg_lo:[0,0,1] neg_hi:[0,0,1]
	v_pk_add_f16 v4, v4, v17
	v_pk_fma_f16 v17, 0xb46139e9, v68, v64 op_sel_hi:[1,0,1] neg_lo:[0,0,1] neg_hi:[0,0,1]
	v_add_f16_e32 v56, v56, v44
	v_pk_add_f16 v58, v6, v58 op_sel_hi:[0,1]
	v_pk_fma_f16 v60, 0xb461bacd, v13, v70 op_sel_hi:[1,0,1] neg_lo:[0,0,1] neg_hi:[0,0,1]
	v_pk_add_f16 v21, v6, v21 op_sel_hi:[0,1]
	v_pk_add_f16 v4, v4, v17
	v_add_f16_e32 v17, v46, v56
	v_pk_fma_f16 v55, 0xbbddb8d2, v13, v55 op_sel_hi:[1,0,1] neg_lo:[0,0,1] neg_hi:[0,0,1]
	v_pk_fma_f16 v13, 0x2de839e9, v13, v18 op_sel_hi:[1,0,1] neg_lo:[0,0,1] neg_hi:[0,0,1]
	v_pk_add_f16 v6, v6, v7 op_sel_hi:[0,1]
	v_pk_add_f16 v58, v58, v60
	v_add_f16_e32 v17, v48, v17
	v_pk_fma_f16 v60, 0x3b7639e9, v14, v73 op_sel_hi:[1,0,1] neg_lo:[0,0,1] neg_hi:[0,0,1]
	v_pk_add_f16 v15, v21, v55
	v_pk_fma_f16 v21, 0xb461bbdd, v14, v59 op_sel_hi:[1,0,1] neg_lo:[0,0,1] neg_hi:[0,0,1]
	v_pk_add_f16 v6, v6, v13
	v_add_f16_e32 v17, v50, v17
	v_pk_fma_f16 v13, 0xb8d23722, v14, v20 op_sel_hi:[1,0,1] neg_lo:[0,0,1] neg_hi:[0,0,1]
	v_pk_add_f16 v56, v58, v60
	v_pk_fma_f16 v58, 0xbacd3722, v16, v75 op_sel_hi:[1,0,1] neg_lo:[0,0,1] neg_hi:[0,0,1]
	v_pk_add_f16 v15, v15, v21
	v_pk_fma_f16 v18, 0x3b76b461, v16, v61 op_sel_hi:[1,0,1] neg_lo:[0,0,1] neg_hi:[0,0,1]
	v_add_f16_e32 v17, v51, v17
	v_pk_add_f16 v6, v6, v13
	v_pk_fma_f16 v13, 0xbbdd2de8, v16, v24 op_sel_hi:[1,0,1] neg_lo:[0,0,1] neg_hi:[0,0,1]
	v_pk_add_f16 v7, v56, v58
	v_pk_fma_f16 v14, 0x2de8bbdd, v19, v77 op_sel_hi:[1,0,1] neg_lo:[0,0,1] neg_hi:[0,0,1]
	v_pk_add_f16 v15, v15, v18
	v_add_f16_e32 v17, v52, v17
	v_pk_fma_f16 v18, 0x372239e9, v19, v63 op_sel_hi:[1,0,1] neg_lo:[0,0,1] neg_hi:[0,0,1]
	v_mul_u32_u24_e32 v16, 34, v0
	v_pk_add_f16 v6, v6, v13
	v_pk_fma_f16 v13, 0xbacdb461, v19, v22 op_sel_hi:[1,0,1] neg_lo:[0,0,1] neg_hi:[0,0,1]
	v_pk_add_f16 v7, v7, v14
	v_add_f16_e32 v14, v53, v17
	v_pk_add_f16 v15, v15, v18
	v_add3_u32 v19, 0, v16, v1
	v_pk_fma_f16 v16, 0x39e92de8, v62, v79 op_sel_hi:[1,0,1] neg_lo:[0,0,1] neg_hi:[0,0,1]
	v_pk_fma_f16 v17, 0xbacd3b76, v62, v66 op_sel_hi:[1,0,1] neg_lo:[0,0,1] neg_hi:[0,0,1]
	v_pk_add_f16 v6, v6, v13
	v_pk_fma_f16 v20, 0xb461b8d2, v62, v57 op_sel_hi:[1,0,1] neg_lo:[0,0,1] neg_hi:[0,0,1]
	v_add_f16_e32 v18, v54, v14
	v_pk_mul_f16 v14, 0x3bf7bbb2, v76 op_sel_hi:[1,0]
	v_pk_add_f16 v7, v7, v16
	v_pk_fma_f16 v16, 0xbbdd3b76, v68, v81 op_sel_hi:[1,0,1] neg_lo:[0,0,1] neg_hi:[0,0,1]
	v_pk_add_f16 v15, v15, v17
	v_pk_fma_f16 v17, 0xb8d22de8, v68, v74 op_sel_hi:[1,0,1] neg_lo:[0,0,1] neg_hi:[0,0,1]
	;; [unrolled: 2-line block ×3, first 2 shown]
	v_pk_fma_f16 v13, 0x2de8b461, v67, v14 op_sel_hi:[1,0,1] neg_lo:[0,0,1] neg_hi:[0,0,1]
	v_pk_add_f16 v7, v7, v16
	v_pk_fma_f16 v16, 0x3722b8d2, v67, v80 op_sel_hi:[1,0,1] neg_lo:[0,0,1] neg_hi:[0,0,1]
	v_pk_add_f16 v15, v15, v17
	;; [unrolled: 2-line block ×3, first 2 shown]
	v_pk_fma_f16 v20, 0x3b76bbdd, v67, v78 op_sel_hi:[1,0,1] neg_lo:[0,0,1] neg_hi:[0,0,1]
	v_pk_fma_f16 v14, 0x2de8b461, v67, v14 op_sel_hi:[1,0,1]
	v_pk_add_f16 v4, v4, v13
	v_pk_add_f16 v7, v7, v16
	;; [unrolled: 1-line block ×5, first 2 shown]
	v_alignbit_b32 v14, v4, v4, 16
	v_alignbit_b32 v15, v7, v7, 16
	;; [unrolled: 1-line block ×4, first 2 shown]
	ds_write_b16 v19, v18
	ds_write_b128 v19, v[10:13] offset:2
	ds_write_b128 v19, v[14:17] offset:18
.LBB0_12:
	s_or_b32 exec_lo, exec_lo, s1
	v_lshlrev_b32_e32 v7, 1, v0
	s_waitcnt lgkmcnt(0)
	s_barrier
	buffer_gl0_inv
	v_add_nc_u32_e32 v4, 0, v7
	v_add3_u32 v7, 0, v1, v7
	v_add_nc_u32_e32 v6, v4, v1
	ds_read_u16 v16, v6 offset:1020
	ds_read_u16 v15, v6 offset:1190
	ds_read_u16 v14, v7
	ds_read_u16 v13, v6 offset:170
	ds_read_u16 v11, v6 offset:340
	;; [unrolled: 1-line block ×12, first 2 shown]
	s_waitcnt lgkmcnt(0)
	s_barrier
	buffer_gl0_inv
	s_and_saveexec_b32 s1, s0
	s_cbranch_execz .LBB0_14
; %bb.13:
	v_add_f16_e32 v55, v5, v49
	v_sub_f16_e32 v28, v28, v54
	v_add_f16_e32 v54, v47, v9
	v_sub_f16_e32 v29, v29, v53
	v_add_f16_e32 v53, v45, v25
	v_add_f16_e32 v47, v55, v47
	v_sub_f16_e32 v30, v30, v52
	v_add_f16_e32 v52, v43, v26
	v_sub_f16_e32 v32, v32, v50
	v_add_f16_e32 v50, v41, v36
	v_add_f16_e32 v45, v47, v45
	;; [unrolled: 1-line block ×4, first 2 shown]
	v_sub_f16_e32 v34, v34, v46
	v_add_f16_e32 v46, v35, v38
	v_add_f16_e32 v43, v45, v43
	;; [unrolled: 1-line block ×3, first 2 shown]
	v_sub_f16_e32 v40, v40, v44
	v_pk_mul_f16 v44, 0xbbf7b964, v29 op_sel_hi:[1,0]
	v_sub_f16_e32 v31, v31, v51
	v_add_f16_e32 v42, v43, v42
	v_pk_mul_f16 v43, 0xb964b5c8, v28 op_sel_hi:[1,0]
	v_sub_f16_e32 v33, v33, v48
	v_pk_mul_f16 v48, 0xba62bb29, v30 op_sel_hi:[1,0]
	v_pk_fma_f16 v61, 0x2de839e9, v54, v44 op_sel_hi:[1,0,1] neg_lo:[0,0,1] neg_hi:[0,0,1]
	v_add_f16_e32 v41, v42, v41
	v_pk_fma_f16 v44, 0x2de839e9, v54, v44 op_sel_hi:[1,0,1]
	v_pk_mul_f16 v51, 0xb1e1bbf7, v31 op_sel_hi:[1,0]
	v_pk_mul_f16 v42, 0x3836bbb2, v32 op_sel_hi:[1,0]
	v_pk_fma_f16 v62, 0xb8d23722, v53, v48 op_sel_hi:[1,0,1] neg_lo:[0,0,1] neg_hi:[0,0,1]
	v_add_f16_e32 v39, v41, v39
	v_pk_mul_f16 v41, 0xbbf7bb29, v28 op_sel_hi:[1,0]
	v_pk_mul_f16 v55, 0x3bb2ba62, v33 op_sel_hi:[1,0]
	;; [unrolled: 1-line block ×3, first 2 shown]
	v_pk_fma_f16 v63, 0xbbdd2de8, v52, v51 op_sel_hi:[1,0,1] neg_lo:[0,0,1] neg_hi:[0,0,1]
	v_add_f16_e32 v35, v39, v35
	v_pk_fma_f16 v39, 0x39e93b76, v49, v43 op_sel_hi:[1,0,1] neg_lo:[0,0,1] neg_hi:[0,0,1]
	v_pk_fma_f16 v43, 0x39e93b76, v49, v43 op_sel_hi:[1,0,1]
	v_pk_mul_f16 v56, 0x3b29b836, v34 op_sel_hi:[1,0]
	v_pk_mul_f16 v59, 0x3bb231e1, v30 op_sel_hi:[1,0]
	v_add_f16_e32 v35, v35, v38
	v_pk_add_f16 v39, v5, v39 op_sel_hi:[0,1]
	v_pk_add_f16 v43, v5, v43 op_sel_hi:[0,1]
	v_pk_fma_f16 v38, 0xbacdb461, v47, v42 op_sel_hi:[1,0,1] neg_lo:[0,0,1] neg_hi:[0,0,1]
	v_pk_mul_f16 v57, 0x35c8b1e1, v40 op_sel_hi:[1,0]
	v_add_f16_e32 v35, v37, v35
	v_pk_add_f16 v39, v39, v61
	v_pk_add_f16 v43, v43, v44
	v_pk_mul_f16 v60, 0x35c83bb2, v31 op_sel_hi:[1,0]
	v_pk_fma_f16 v64, 0xb461b8d2, v50, v55 op_sel_hi:[1,0,1] neg_lo:[0,0,1] neg_hi:[0,0,1]
	v_add_f16_e32 v35, v36, v35
	v_pk_fma_f16 v36, 0xb8d23722, v53, v48 op_sel_hi:[1,0,1]
	v_pk_fma_f16 v48, 0xbbdd2de8, v52, v51 op_sel_hi:[1,0,1]
	v_pk_add_f16 v39, v39, v62
	v_pk_fma_f16 v37, 0x3722bacd, v45, v56 op_sel_hi:[1,0,1] neg_lo:[0,0,1] neg_hi:[0,0,1]
	v_add_f16_e32 v27, v27, v35
	v_pk_add_f16 v36, v43, v36
	v_pk_fma_f16 v35, 0xbacdb461, v47, v42 op_sel_hi:[1,0,1]
	v_pk_fma_f16 v42, 0xb461b8d2, v50, v55 op_sel_hi:[1,0,1]
	v_pk_add_f16 v39, v39, v63
	v_add_f16_e32 v26, v26, v27
	v_pk_fma_f16 v27, 0x2de83722, v49, v41 op_sel_hi:[1,0,1] neg_lo:[0,0,1] neg_hi:[0,0,1]
	v_pk_add_f16 v36, v36, v48
	v_pk_fma_f16 v43, 0xbbddb8d2, v54, v58 op_sel_hi:[1,0,1] neg_lo:[0,0,1] neg_hi:[0,0,1]
	v_pk_add_f16 v38, v39, v38
	v_add_f16_e32 v25, v25, v26
	v_pk_add_f16 v26, v5, v27 op_sel_hi:[0,1]
	v_pk_add_f16 v35, v36, v35
	v_pk_fma_f16 v27, 0xb461bbdd, v53, v59 op_sel_hi:[1,0,1] neg_lo:[0,0,1] neg_hi:[0,0,1]
	v_pk_add_f16 v36, v38, v64
	v_add_f16_e32 v9, v9, v25
	v_pk_add_f16 v25, v26, v43
	v_pk_fma_f16 v26, 0x3722bacd, v45, v56 op_sel_hi:[1,0,1]
	v_pk_add_f16 v35, v35, v42
	v_pk_add_f16 v36, v36, v37
	v_add_f16_e32 v8, v8, v9
	v_pk_add_f16 v9, v25, v27
	v_pk_fma_f16 v25, 0x3b76b461, v52, v60 op_sel_hi:[1,0,1] neg_lo:[0,0,1] neg_hi:[0,0,1]
	v_pk_mul_f16 v27, 0xbb293964, v32 op_sel_hi:[1,0]
	v_pk_add_f16 v26, v35, v26
	v_pk_fma_f16 v35, 0x3b76bbdd, v46, v57 op_sel_hi:[1,0,1]
	v_pk_fma_f16 v37, 0x3b76bbdd, v46, v57 op_sel_hi:[1,0,1] neg_lo:[0,0,1] neg_hi:[0,0,1]
	v_pk_add_f16 v9, v9, v25
	v_pk_fma_f16 v38, 0x372239e9, v47, v27 op_sel_hi:[1,0,1] neg_lo:[0,0,1] neg_hi:[0,0,1]
	v_pk_mul_f16 v39, 0xb836b5c8, v33 op_sel_hi:[1,0]
	v_pk_add_f16 v35, v26, v35
	v_pk_fma_f16 v26, 0x2de83722, v49, v41 op_sel_hi:[1,0,1]
	v_pk_add_f16 v25, v36, v37
	v_pk_add_f16 v9, v9, v38
	v_pk_fma_f16 v36, 0xbacd3b76, v50, v39 op_sel_hi:[1,0,1] neg_lo:[0,0,1] neg_hi:[0,0,1]
	v_pk_mul_f16 v37, 0x3a62bbf7, v34 op_sel_hi:[1,0]
	v_pk_mul_f16 v38, 0xba62bbb2, v28 op_sel_hi:[1,0]
	v_pk_add_f16 v26, v5, v26 op_sel_hi:[0,1]
	v_pk_fma_f16 v41, 0xbbddb8d2, v54, v58 op_sel_hi:[1,0,1]
	v_pk_add_f16 v9, v9, v36
	v_pk_fma_f16 v36, 0xb8d22de8, v45, v37 op_sel_hi:[1,0,1] neg_lo:[0,0,1] neg_hi:[0,0,1]
	v_pk_fma_f16 v42, 0xb8d2b461, v49, v38 op_sel_hi:[1,0,1] neg_lo:[0,0,1] neg_hi:[0,0,1]
	v_pk_mul_f16 v43, 0x3bb23836, v29 op_sel_hi:[1,0]
	v_pk_add_f16 v26, v26, v41
	v_pk_fma_f16 v41, 0xb461bbdd, v53, v59 op_sel_hi:[1,0,1]
	v_pk_add_f16 v9, v9, v36
	v_pk_add_f16 v36, v5, v42 op_sel_hi:[0,1]
	v_pk_fma_f16 v42, 0xb461bacd, v54, v43 op_sel_hi:[1,0,1] neg_lo:[0,0,1] neg_hi:[0,0,1]
	v_pk_mul_f16 v44, 0xb5c83964, v30 op_sel_hi:[1,0]
	v_pk_add_f16 v26, v26, v41
	v_pk_fma_f16 v41, 0x3b76b461, v52, v60 op_sel_hi:[1,0,1]
	v_pk_mul_f16 v48, 0x3964b836, v40 op_sel_hi:[1,0]
	v_pk_add_f16 v36, v36, v42
	v_pk_fma_f16 v42, 0x3b7639e9, v53, v44 op_sel_hi:[1,0,1] neg_lo:[0,0,1] neg_hi:[0,0,1]
	v_pk_mul_f16 v51, 0xb836bb29, v31 op_sel_hi:[1,0]
	v_pk_add_f16 v26, v26, v41
	v_pk_fma_f16 v27, 0x372239e9, v47, v27 op_sel_hi:[1,0,1]
	v_pk_fma_f16 v41, 0x39e9bacd, v46, v48 op_sel_hi:[1,0,1] neg_lo:[0,0,1] neg_hi:[0,0,1]
	v_pk_add_f16 v36, v36, v42
	v_pk_fma_f16 v42, 0xbacd3722, v52, v51 op_sel_hi:[1,0,1] neg_lo:[0,0,1] neg_hi:[0,0,1]
	v_pk_mul_f16 v55, 0x3bf7b1e1, v32 op_sel_hi:[1,0]
	v_pk_add_f16 v27, v26, v27
	v_pk_fma_f16 v39, 0xbacd3b76, v50, v39 op_sel_hi:[1,0,1]
	v_pk_add_f16 v26, v9, v41
	v_pk_add_f16 v9, v36, v42
	v_pk_fma_f16 v36, 0x2de8bbdd, v47, v55 op_sel_hi:[1,0,1] neg_lo:[0,0,1] neg_hi:[0,0,1]
	v_pk_mul_f16 v41, 0xb9643bf7, v33 op_sel_hi:[1,0]
	v_pk_add_f16 v27, v27, v39
	v_pk_fma_f16 v38, 0xb8d2b461, v49, v38 op_sel_hi:[1,0,1]
	v_pk_fma_f16 v37, 0xb8d22de8, v45, v37 op_sel_hi:[1,0,1]
	v_pk_add_f16 v9, v9, v36
	v_pk_fma_f16 v36, 0x39e92de8, v50, v41 op_sel_hi:[1,0,1] neg_lo:[0,0,1] neg_hi:[0,0,1]
	v_pk_mul_f16 v39, 0xb1e1b5c8, v34 op_sel_hi:[1,0]
	v_pk_add_f16 v38, v5, v38 op_sel_hi:[0,1]
	v_pk_fma_f16 v42, 0xb461bacd, v54, v43 op_sel_hi:[1,0,1]
	v_pk_add_f16 v27, v27, v37
	v_pk_fma_f16 v37, 0x39e9bacd, v46, v48 op_sel_hi:[1,0,1]
	v_pk_add_f16 v9, v9, v36
	v_pk_fma_f16 v36, 0xbbdd3b76, v45, v39 op_sel_hi:[1,0,1] neg_lo:[0,0,1] neg_hi:[0,0,1]
	v_pk_add_f16 v38, v38, v42
	v_pk_fma_f16 v42, 0x3b7639e9, v53, v44 op_sel_hi:[1,0,1]
	v_pk_add_f16 v37, v27, v37
	v_pk_mul_f16 v27, 0xb1e1b836, v28 op_sel_hi:[1,0]
	v_pk_add_f16 v9, v9, v36
	v_pk_mul_f16 v29, 0x35c83b29, v29 op_sel_hi:[1,0]
	v_pk_add_f16 v36, v38, v42
	v_pk_fma_f16 v38, 0xbacd3722, v52, v51 op_sel_hi:[1,0,1]
	v_pk_fma_f16 v42, 0xbbddbacd, v49, v27 op_sel_hi:[1,0,1]
	v_pk_fma_f16 v27, 0xbbddbacd, v49, v27 op_sel_hi:[1,0,1] neg_lo:[0,0,1] neg_hi:[0,0,1]
	v_pk_mul_f16 v30, 0xb836bbf7, v30 op_sel_hi:[1,0]
	v_pk_mul_f16 v31, 0x39643a62, v31 op_sel_hi:[1,0]
	v_pk_add_f16 v36, v36, v38
	v_pk_add_f16 v38, v5, v42 op_sel_hi:[0,1]
	v_pk_fma_f16 v42, 0x3b763722, v54, v29 op_sel_hi:[1,0,1]
	v_pk_add_f16 v5, v5, v27 op_sel_hi:[0,1]
	v_pk_fma_f16 v27, 0x3b763722, v54, v29 op_sel_hi:[1,0,1] neg_lo:[0,0,1] neg_hi:[0,0,1]
	v_pk_fma_f16 v29, 0x2de8bbdd, v47, v55 op_sel_hi:[1,0,1]
	v_pk_mul_f16 v32, 0xba62b5c8, v32 op_sel_hi:[1,0]
	v_pk_add_f16 v38, v38, v42
	v_pk_fma_f16 v42, 0xbacd2de8, v53, v30 op_sel_hi:[1,0,1]
	v_pk_add_f16 v5, v5, v27
	v_pk_fma_f16 v27, 0xbacd2de8, v53, v30 op_sel_hi:[1,0,1] neg_lo:[0,0,1] neg_hi:[0,0,1]
	v_pk_add_f16 v29, v36, v29
	v_pk_fma_f16 v36, 0x39e9b8d2, v52, v31 op_sel_hi:[1,0,1]
	v_pk_add_f16 v30, v38, v42
	v_pk_mul_f16 v33, 0x3b29b1e1, v33 op_sel_hi:[1,0]
	v_pk_add_f16 v5, v5, v27
	v_pk_fma_f16 v27, 0x39e9b8d2, v52, v31 op_sel_hi:[1,0,1] neg_lo:[0,0,1] neg_hi:[0,0,1]
	v_pk_fma_f16 v31, 0x39e92de8, v50, v41 op_sel_hi:[1,0,1]
	v_pk_add_f16 v30, v30, v36
	v_pk_fma_f16 v36, 0xb8d23b76, v47, v32 op_sel_hi:[1,0,1]
	v_pk_mul_f16 v28, 0x3b29ba62, v40 op_sel_hi:[1,0]
	v_pk_add_f16 v5, v5, v27
	v_pk_fma_f16 v27, 0xb8d23b76, v47, v32 op_sel_hi:[1,0,1] neg_lo:[0,0,1] neg_hi:[0,0,1]
	v_pk_add_f16 v29, v29, v31
	v_pk_add_f16 v30, v30, v36
	v_pk_fma_f16 v31, 0x3722bbdd, v50, v33 op_sel_hi:[1,0,1]
	v_pk_mul_f16 v32, 0xbbb23964, v34 op_sel_hi:[1,0]
	v_pk_add_f16 v5, v5, v27
	v_pk_fma_f16 v27, 0x3722bbdd, v50, v33 op_sel_hi:[1,0,1] neg_lo:[0,0,1] neg_hi:[0,0,1]
	v_pk_fma_f16 v33, 0xbbdd3b76, v45, v39 op_sel_hi:[1,0,1]
	v_pk_add_f16 v30, v30, v31
	v_pk_fma_f16 v31, 0xb46139e9, v45, v32 op_sel_hi:[1,0,1]
	v_pk_mul_f16 v34, 0x3bf7bbb2, v40 op_sel_hi:[1,0]
	v_pk_add_f16 v5, v5, v27
	v_pk_fma_f16 v27, 0xb46139e9, v45, v32 op_sel_hi:[1,0,1] neg_lo:[0,0,1] neg_hi:[0,0,1]
	v_pk_fma_f16 v43, 0x3722b8d2, v46, v28 op_sel_hi:[1,0,1] neg_lo:[0,0,1] neg_hi:[0,0,1]
	v_pk_add_f16 v29, v29, v33
	v_pk_add_f16 v30, v30, v31
	v_pk_fma_f16 v31, 0x2de8b461, v46, v34 op_sel_hi:[1,0,1]
	v_pk_fma_f16 v28, 0x3722b8d2, v46, v28 op_sel_hi:[1,0,1]
	v_lshlrev_b32_e32 v33, 5, v0
	v_pk_add_f16 v5, v5, v27
	v_pk_fma_f16 v32, 0x2de8b461, v46, v34 op_sel_hi:[1,0,1] neg_lo:[0,0,1] neg_hi:[0,0,1]
	v_pk_add_f16 v30, v30, v31
	v_pk_add_f16 v31, v29, v28
	v_add3_u32 v4, v4, v33, v1
	v_pk_add_f16 v27, v9, v43
	v_pk_add_f16 v28, v5, v32
	v_alignbit_b32 v29, v30, v30, 16
	v_alignbit_b32 v30, v31, v31, 16
	v_alignbit_b32 v31, v37, v37, 16
	v_alignbit_b32 v32, v35, v35, 16
	ds_write_b16 v4, v8
	ds_write_b128 v4, v[25:28] offset:2
	ds_write_b128 v4, v[29:32] offset:18
.LBB0_14:
	s_or_b32 exec_lo, exec_lo, s1
	v_and_b32_e32 v4, 0xff, v0
	v_add_nc_u32_e32 v5, 0x154, v0
	v_mov_b32_e32 v25, 0xf0f1
	v_add_nc_u32_e32 v8, 0x55, v0
	v_add_nc_u32_e32 v9, 0xaa, v0
	v_mul_lo_u16 v4, 0xf1, v4
	v_add_nc_u32_e32 v26, 0xff, v0
	v_mul_u32_u24_sdwa v27, v5, v25 dst_sel:DWORD dst_unused:UNUSED_PAD src0_sel:WORD_0 src1_sel:DWORD
	v_and_b32_e32 v38, 0xff, v8
	v_and_b32_e32 v40, 0xff, v9
	v_lshrrev_b16 v37, 12, v4
	v_mov_b32_e32 v33, 3
	v_lshrrev_b32_e32 v39, 20, v27
	v_mul_lo_u16 v27, 0xf1, v38
	v_mul_u32_u24_sdwa v25, v26, v25 dst_sel:DWORD dst_unused:UNUSED_PAD src0_sel:WORD_0 src1_sel:DWORD
	v_mul_lo_u16 v4, v37, 17
	s_waitcnt lgkmcnt(0)
	v_mul_lo_u16 v28, v39, 17
	v_lshrrev_b16 v42, 12, v27
	v_lshrrev_b32_e32 v45, 20, v25
	v_sub_nc_u16 v41, v0, v4
	v_mul_lo_u16 v4, 0xf1, v40
	v_sub_nc_u16 v43, v5, v28
	s_barrier
	buffer_gl0_inv
	v_lshlrev_b32_sdwa v5, v33, v41 dst_sel:DWORD dst_unused:UNUSED_PAD src0_sel:DWORD src1_sel:BYTE_0
	v_lshrrev_b16 v44, 12, v4
	v_lshlrev_b32_sdwa v25, v33, v43 dst_sel:DWORD dst_unused:UNUSED_PAD src0_sel:DWORD src1_sel:WORD_0
	v_mul_lo_u16 v4, v42, 17
	v_cmp_gt_u32_e64 s0, 51, v0
	global_load_dwordx2 v[27:28], v5, s[8:9]
	v_and_b32_e32 v66, 0xffff, v37
	global_load_dwordx2 v[29:30], v25, s[8:9]
	v_mul_lo_u16 v5, v44, 17
	v_sub_nc_u16 v46, v8, v4
	v_mul_lo_u16 v4, v45, 17
	v_mov_b32_e32 v25, 1
	v_and_b32_e32 v42, 0xffff, v42
	v_sub_nc_u16 v47, v9, v5
	v_lshlrev_b32_sdwa v5, v33, v46 dst_sel:DWORD dst_unused:UNUSED_PAD src0_sel:DWORD src1_sel:BYTE_0
	v_sub_nc_u16 v48, v26, v4
	v_and_b32_e32 v44, 0xffff, v44
	v_mul_lo_u16 v65, 0xa1, v38
	v_lshlrev_b32_sdwa v4, v33, v47 dst_sel:DWORD dst_unused:UNUSED_PAD src0_sel:DWORD src1_sel:BYTE_0
	global_load_dwordx2 v[31:32], v5, s[8:9]
	v_lshlrev_b32_sdwa v5, v33, v48 dst_sel:DWORD dst_unused:UNUSED_PAD src0_sel:DWORD src1_sel:WORD_0
	s_clause 0x1
	global_load_dwordx2 v[33:34], v4, s[8:9]
	global_load_dwordx2 v[35:36], v5, s[8:9]
	v_subrev_nc_u32_e32 v4, 51, v0
	ds_read_u16 v49, v6 offset:1020
	ds_read_u16 v50, v6 offset:1190
	ds_read_u16 v51, v7
	ds_read_u16 v52, v6 offset:170
	ds_read_u16 v53, v6 offset:340
	;; [unrolled: 1-line block ×12, first 2 shown]
	v_mov_b32_e32 v5, 0
	v_cndmask_b32_e64 v26, v4, v0, s0
	v_mad_u32_u24 v39, 0x66, v39, 0
	v_lshlrev_b32_sdwa v41, v25, v41 dst_sel:DWORD dst_unused:UNUSED_PAD src0_sel:DWORD src1_sel:BYTE_0
	v_lshlrev_b32_sdwa v43, v25, v43 dst_sel:DWORD dst_unused:UNUSED_PAD src0_sel:DWORD src1_sel:WORD_0
	v_mad_u32_u24 v42, 0x66, v42, 0
	v_lshlrev_b32_e32 v4, 2, v26
	v_mad_u32_u24 v44, 0x66, v44, 0
	v_lshlrev_b32_sdwa v46, v25, v46 dst_sel:DWORD dst_unused:UNUSED_PAD src0_sel:DWORD src1_sel:BYTE_0
	v_lshlrev_b32_sdwa v47, v25, v47 dst_sel:DWORD dst_unused:UNUSED_PAD src0_sel:DWORD src1_sel:BYTE_0
	v_mad_u32_u24 v45, 0x66, v45, 0
	v_lshlrev_b64 v[37:38], 2, v[4:5]
	v_mad_u32_u24 v4, 0x66, v66, 0
	v_lshlrev_b32_sdwa v48, v25, v48 dst_sel:DWORD dst_unused:UNUSED_PAD src0_sel:DWORD src1_sel:WORD_0
	v_add3_u32 v39, v39, v43, v1
	v_add3_u32 v42, v42, v46, v1
	;; [unrolled: 1-line block ×5, first 2 shown]
	v_mul_lo_u16 v40, 0xa1, v40
	v_lshrrev_b16 v65, 13, v65
	s_waitcnt vmcnt(0) lgkmcnt(0)
	s_barrier
	buffer_gl0_inv
	v_lshrrev_b16 v40, 13, v40
	v_mul_lo_u16 v66, v65, 51
	v_mov_b32_e32 v64, 4
	v_add_co_u32 v37, s0, s8, v37
	v_add_co_ci_u32_e64 v38, s0, s9, v38, s0
	v_sub_nc_u16 v66, v8, v66
	v_cmp_lt_u32_e64 s0, 50, v0
	v_lshlrev_b32_e32 v26, 1, v26
	v_mul_f16_sdwa v4, v56, v27 dst_sel:DWORD dst_unused:UNUSED_PAD src0_sel:DWORD src1_sel:WORD_1
	v_mul_f16_sdwa v44, v23, v27 dst_sel:DWORD dst_unused:UNUSED_PAD src0_sel:DWORD src1_sel:WORD_1
	;; [unrolled: 1-line block ×6, first 2 shown]
	v_fmac_f16_e32 v4, v23, v27
	v_fma_f16 v23, v56, v27, -v44
	v_fmac_f16_e32 v46, v24, v28
	v_mul_f16_sdwa v68, v61, v30 dst_sel:DWORD dst_unused:UNUSED_PAD src0_sel:DWORD src1_sel:WORD_1
	v_mul_f16_sdwa v69, v21, v30 dst_sel:DWORD dst_unused:UNUSED_PAD src0_sel:DWORD src1_sel:WORD_1
	v_fma_f16 v24, v62, v28, -v47
	v_fmac_f16_e32 v48, v22, v29
	v_fma_f16 v22, v63, v29, -v67
	v_mul_f16_sdwa v27, v49, v31 dst_sel:DWORD dst_unused:UNUSED_PAD src0_sel:DWORD src1_sel:WORD_1
	v_mul_f16_sdwa v44, v58, v32 dst_sel:DWORD dst_unused:UNUSED_PAD src0_sel:DWORD src1_sel:WORD_1
	;; [unrolled: 1-line block ×8, first 2 shown]
	v_fmac_f16_e32 v27, v16, v31
	v_fmac_f16_e32 v44, v20, v32
	v_add_f16_e32 v29, v4, v46
	v_mul_f16_sdwa v62, v15, v33 dst_sel:DWORD dst_unused:UNUSED_PAD src0_sel:DWORD src1_sel:WORD_1
	v_mul_f16_sdwa v71, v19, v34 dst_sel:DWORD dst_unused:UNUSED_PAD src0_sel:DWORD src1_sel:WORD_1
	;; [unrolled: 1-line block ×4, first 2 shown]
	v_fmac_f16_e32 v68, v21, v30
	v_fma_f16 v21, v61, v30, -v69
	v_fma_f16 v16, v49, v31, -v28
	;; [unrolled: 1-line block ×3, first 2 shown]
	v_fmac_f16_e32 v56, v15, v33
	v_fmac_f16_e32 v70, v19, v34
	;; [unrolled: 1-line block ×4, first 2 shown]
	v_add_f16_e32 v28, v14, v4
	v_add_f16_e32 v31, v51, v23
	v_sub_f16_e32 v30, v23, v24
	v_add_f16_e32 v23, v23, v24
	v_fmac_f16_e32 v14, -0.5, v29
	v_add_f16_e32 v29, v27, v44
	v_fma_f16 v15, v50, v33, -v62
	v_fma_f16 v19, v59, v34, -v71
	;; [unrolled: 1-line block ×4, first 2 shown]
	v_sub_f16_e32 v4, v4, v46
	v_add_f16_e32 v32, v12, v48
	v_add_f16_e32 v33, v48, v68
	v_sub_f16_e32 v34, v22, v21
	v_add_f16_e32 v35, v57, v22
	v_add_f16_e32 v22, v22, v21
	;; [unrolled: 3-line block ×4, first 2 shown]
	v_add_f16_e32 v48, v56, v70
	v_add_f16_e32 v58, v72, v74
	v_fmac_f16_e32 v51, -0.5, v23
	v_add_f16_e32 v23, v13, v27
	v_fmac_f16_e32 v13, -0.5, v29
	v_add_f16_e32 v47, v11, v56
	v_sub_f16_e32 v27, v27, v44
	v_sub_f16_e32 v49, v15, v19
	v_add_f16_e32 v50, v53, v15
	v_add_f16_e32 v15, v15, v19
	v_sub_f16_e32 v55, v56, v70
	v_add_f16_e32 v56, v10, v72
	v_sub_f16_e32 v59, v17, v18
	v_add_f16_e32 v60, v54, v17
	v_add_f16_e32 v17, v17, v18
	v_fmac_f16_e32 v12, -0.5, v33
	v_fmac_f16_e32 v57, -0.5, v22
	v_fmamk_f16 v22, v30, 0xbaee, v14
	v_fmac_f16_e32 v52, -0.5, v16
	v_fmac_f16_e32 v11, -0.5, v48
	;; [unrolled: 1-line block ×3, first 2 shown]
	v_fmac_f16_e32 v14, 0x3aee, v30
	v_fmamk_f16 v30, v4, 0x3aee, v51
	v_fmac_f16_e32 v51, 0xbaee, v4
	v_add_f16_e32 v4, v23, v44
	ds_write_b16 v41, v28
	v_fmamk_f16 v28, v31, 0xbaee, v13
	v_add_f16_e32 v16, v47, v70
	v_fmac_f16_e32 v13, 0x3aee, v31
	v_sub_f16_e32 v61, v72, v74
	v_add_f16_e32 v32, v32, v68
	v_fmac_f16_e32 v53, -0.5, v15
	v_add_f16_e32 v15, v56, v74
	v_fmac_f16_e32 v54, -0.5, v17
	v_fmamk_f16 v17, v34, 0xbaee, v12
	v_fmac_f16_e32 v12, 0x3aee, v34
	v_fmamk_f16 v29, v27, 0x3aee, v52
	v_fmac_f16_e32 v52, 0xbaee, v27
	;; [unrolled: 2-line block ×4, first 2 shown]
	ds_write_b16 v41, v22 offset:34
	ds_write_b16 v41, v14 offset:68
	ds_write_b16 v42, v4
	ds_write_b16 v42, v28 offset:34
	ds_write_b16 v42, v13 offset:68
	ds_write_b16 v43, v16
	;; [unrolled: 3-line block ×4, first 2 shown]
	ds_write_b16 v39, v17 offset:34
	ds_write_b16 v39, v12 offset:68
	v_mul_lo_u16 v16, v40, 51
	v_add_f16_e32 v20, v46, v20
	v_add_f16_e32 v21, v35, v21
	;; [unrolled: 1-line block ×4, first 2 shown]
	v_fmamk_f16 v23, v36, 0x3aee, v57
	v_fmac_f16_e32 v57, 0xbaee, v36
	v_fmamk_f16 v31, v55, 0x3aee, v53
	v_fmac_f16_e32 v53, 0xbaee, v55
	;; [unrolled: 2-line block ×3, first 2 shown]
	s_waitcnt lgkmcnt(0)
	s_barrier
	buffer_gl0_inv
	ds_read_u16 v11, v7
	ds_read_u16 v4, v6 offset:170
	ds_read_u16 v27, v6 offset:680
	;; [unrolled: 1-line block ×14, first 2 shown]
	s_waitcnt lgkmcnt(0)
	s_barrier
	buffer_gl0_inv
	ds_write_b16 v41, v24
	ds_write_b16 v41, v30 offset:34
	ds_write_b16 v41, v51 offset:68
	ds_write_b16 v42, v20
	ds_write_b16 v42, v29 offset:34
	ds_write_b16 v42, v52 offset:68
	;; [unrolled: 3-line block ×5, first 2 shown]
	v_sub_nc_u16 v24, v9, v16
	v_lshlrev_b32_sdwa v17, v64, v66 dst_sel:DWORD dst_unused:UNUSED_PAD src0_sel:DWORD src1_sel:BYTE_0
	s_waitcnt lgkmcnt(0)
	s_barrier
	buffer_gl0_inv
	v_lshlrev_b32_sdwa v20, v64, v24 dst_sel:DWORD dst_unused:UNUSED_PAD src0_sel:DWORD src1_sel:BYTE_0
	s_clause 0x1
	global_load_dwordx4 v[12:15], v[37:38], off offset:136
	global_load_dwordx4 v[16:19], v17, s[8:9] offset:136
	v_cndmask_b32_e64 v29, 0, 0x1fe, s0
	v_and_b32_e32 v30, 0xffff, v65
	global_load_dwordx4 v[20:23], v20, s[8:9] offset:136
	v_and_b32_e32 v31, 0xffff, v40
	v_lshlrev_b32_sdwa v34, v25, v66 dst_sel:DWORD dst_unused:UNUSED_PAD src0_sel:DWORD src1_sel:BYTE_0
	v_add_nc_u32_e32 v29, 0, v29
	v_mad_u32_u24 v30, 0x1fe, v30, 0
	v_lshlrev_b32_sdwa v24, v25, v24 dst_sel:DWORD dst_unused:UNUSED_PAD src0_sel:DWORD src1_sel:BYTE_0
	v_mad_u32_u24 v31, 0x1fe, v31, 0
	v_add3_u32 v25, v29, v26, v1
	ds_read_u16 v26, v6 offset:510
	v_add3_u32 v29, v30, v34, v1
	ds_read_u16 v30, v6 offset:1020
	v_add3_u32 v1, v31, v24, v1
	ds_read_u16 v24, v6 offset:1530
	ds_read_u16 v31, v6 offset:2040
	ds_read_u16 v34, v7
	ds_read_u16 v37, v6 offset:170
	ds_read_u16 v38, v6 offset:680
	ds_read_u16 v39, v6 offset:1190
	ds_read_u16 v40, v6 offset:1700
	ds_read_u16 v41, v6 offset:850
	ds_read_u16 v42, v6 offset:340
	ds_read_u16 v43, v6 offset:2210
	ds_read_u16 v45, v6 offset:2380
	ds_read_u16 v51, v6 offset:1870
	ds_read_u16 v52, v6 offset:1360
	s_waitcnt vmcnt(0) lgkmcnt(0)
	s_barrier
	buffer_gl0_inv
	v_mul_f16_sdwa v55, v30, v13 dst_sel:DWORD dst_unused:UNUSED_PAD src0_sel:DWORD src1_sel:WORD_1
	v_mul_f16_sdwa v57, v24, v14 dst_sel:DWORD dst_unused:UNUSED_PAD src0_sel:DWORD src1_sel:WORD_1
	;; [unrolled: 1-line block ×24, first 2 shown]
	v_fmac_f16_e32 v55, v33, v13
	v_fmac_f16_e32 v57, v49, v14
	;; [unrolled: 1-line block ×9, first 2 shown]
	v_fma_f16 v12, v26, v12, -v54
	v_fma_f16 v13, v30, v13, -v56
	;; [unrolled: 1-line block ×5, first 2 shown]
	v_fmac_f16_e32 v63, v28, v17
	v_fma_f16 v17, v39, v17, -v64
	v_fmac_f16_e32 v65, v32, v18
	v_fma_f16 v18, v40, v18, -v66
	v_fmac_f16_e32 v67, v44, v19
	v_fma_f16 v19, v43, v19, -v68
	v_fma_f16 v20, v41, v20, -v70
	v_fma_f16 v21, v52, v21, -v72
	;; [unrolled: 1-line block ×4, first 2 shown]
	v_add_f16_e32 v26, v55, v57
	v_add_f16_e32 v32, v53, v59
	v_sub_f16_e32 v30, v53, v55
	v_sub_f16_e32 v31, v59, v57
	;; [unrolled: 1-line block ×4, first 2 shown]
	v_add_f16_e32 v46, v4, v61
	v_add_f16_e32 v72, v71, v73
	;; [unrolled: 1-line block ×4, first 2 shown]
	v_sub_f16_e32 v27, v12, v15
	v_add_f16_e32 v36, v34, v12
	v_add_f16_e32 v38, v13, v14
	v_sub_f16_e32 v41, v12, v13
	v_sub_f16_e32 v43, v15, v14
	v_add_f16_e32 v44, v12, v15
	v_sub_f16_e32 v12, v13, v12
	v_sub_f16_e32 v45, v14, v15
	;; [unrolled: 3-line block ×3, first 2 shown]
	v_add_f16_e32 v52, v61, v67
	v_add_f16_e32 v56, v37, v16
	;; [unrolled: 1-line block ×7, first 2 shown]
	v_sub_f16_e32 v39, v53, v59
	v_sub_f16_e32 v53, v63, v61
	;; [unrolled: 1-line block ×3, first 2 shown]
	v_fma_f16 v26, -0.5, v26, v11
	v_sub_f16_e32 v28, v13, v14
	v_fmac_f16_e32 v11, -0.5, v32
	v_sub_f16_e32 v76, v21, v22
	v_add_f16_e32 v30, v30, v31
	v_add_f16_e32 v31, v33, v35
	;; [unrolled: 1-line block ×3, first 2 shown]
	v_fma_f16 v46, -0.5, v72, v10
	v_fmac_f16_e32 v10, -0.5, v79
	v_sub_f16_e32 v40, v55, v57
	v_sub_f16_e32 v48, v16, v19
	;; [unrolled: 1-line block ×9, first 2 shown]
	v_add_f16_e32 v82, v42, v20
	v_sub_f16_e32 v84, v71, v73
	v_add_f16_e32 v24, v24, v55
	v_add_f16_e32 v13, v36, v13
	v_fma_f16 v32, -0.5, v38, v34
	v_add_f16_e32 v33, v41, v43
	v_fmac_f16_e32 v34, -0.5, v44
	v_add_f16_e32 v12, v12, v45
	v_fma_f16 v36, -0.5, v47, v4
	v_add_f16_e32 v38, v50, v51
	v_fmac_f16_e32 v4, -0.5, v52
	v_add_f16_e32 v17, v56, v17
	v_fma_f16 v43, -0.5, v58, v37
	v_fmac_f16_e32 v37, -0.5, v66
	v_add_f16_e32 v45, v70, v71
	v_fma_f16 v51, -0.5, v83, v42
	v_fmac_f16_e32 v42, -0.5, v87
	v_add_f16_e32 v41, v53, v54
	v_fmamk_f16 v53, v27, 0xbb9c, v26
	v_fmamk_f16 v54, v28, 0x3b9c, v11
	v_fmac_f16_e32 v11, 0xbb9c, v28
	v_sub_f16_e32 v80, v71, v69
	v_sub_f16_e32 v81, v73, v75
	v_fmac_f16_e32 v26, 0x3b9c, v27
	v_fmamk_f16 v63, v76, 0x3b9c, v10
	v_fmac_f16_e32 v10, 0xbb9c, v76
	v_sub_f16_e32 v68, v18, v19
	v_sub_f16_e32 v77, v69, v71
	;; [unrolled: 1-line block ×7, first 2 shown]
	v_add_f16_e32 v44, v62, v64
	v_add_f16_e32 v21, v82, v21
	;; [unrolled: 1-line block ×4, first 2 shown]
	v_fmamk_f16 v56, v40, 0xbb9c, v34
	v_fmac_f16_e32 v34, 0x3b9c, v40
	v_add_f16_e32 v14, v35, v65
	v_fmamk_f16 v35, v48, 0xbb9c, v36
	v_fmac_f16_e32 v36, 0x3b9c, v48
	v_fmamk_f16 v57, v49, 0x3b9c, v4
	v_fmac_f16_e32 v4, 0xbb9c, v49
	v_add_f16_e32 v17, v17, v18
	v_fmamk_f16 v62, v61, 0xbb9c, v37
	v_fmac_f16_e32 v37, 0x3b9c, v61
	v_add_f16_e32 v18, v45, v73
	v_fmamk_f16 v45, v74, 0xbb9c, v46
	v_fmac_f16_e32 v46, 0x3b9c, v74
	v_fmamk_f16 v65, v84, 0xbb9c, v42
	v_fmac_f16_e32 v42, 0x3b9c, v84
	v_fmac_f16_e32 v53, 0xb8b4, v28
	;; [unrolled: 1-line block ×4, first 2 shown]
	v_add_f16_e32 v50, v80, v81
	v_fmac_f16_e32 v26, 0x38b4, v28
	v_fmac_f16_e32 v10, 0x38b4, v74
	v_sub_f16_e32 v86, v23, v22
	v_add_f16_e32 v16, v16, v68
	v_add_f16_e32 v47, v77, v78
	;; [unrolled: 1-line block ×5, first 2 shown]
	v_fmac_f16_e32 v56, 0x38b4, v39
	v_fmac_f16_e32 v34, 0xb8b4, v39
	;; [unrolled: 1-line block ×16, first 2 shown]
	v_add_f16_e32 v27, v13, v15
	v_add_f16_e32 v13, v14, v67
	;; [unrolled: 1-line block ×3, first 2 shown]
	v_fmac_f16_e32 v26, 0x34f2, v30
	v_fmac_f16_e32 v10, 0x34f2, v50
	v_fmamk_f16 v55, v39, 0x3b9c, v32
	v_fmac_f16_e32 v32, 0xbb9c, v39
	v_add_f16_e32 v28, v17, v19
	v_add_f16_e32 v39, v21, v23
	v_fmac_f16_e32 v56, 0x34f2, v12
	v_fmac_f16_e32 v34, 0x34f2, v12
	;; [unrolled: 1-line block ×13, first 2 shown]
	ds_write_b16 v25, v22
	ds_write_b16 v25, v53 offset:102
	ds_write_b16 v25, v54 offset:204
	ds_write_b16 v25, v11 offset:306
	ds_write_b16 v25, v26 offset:408
	ds_write_b16 v29, v13
	ds_write_b16 v29, v35 offset:102
	ds_write_b16 v29, v57 offset:204
	ds_write_b16 v29, v4 offset:306
	ds_write_b16 v29, v36 offset:408
	;; [unrolled: 5-line block ×3, first 2 shown]
	s_waitcnt lgkmcnt(0)
	s_barrier
	buffer_gl0_inv
	ds_read_u16 v10, v7
	ds_read_u16 v11, v6 offset:170
	ds_read_u16 v17, v6 offset:680
	;; [unrolled: 1-line block ×14, first 2 shown]
	v_fmamk_f16 v58, v60, 0x3b9c, v43
	v_fmac_f16_e32 v43, 0xbb9c, v60
	v_fmamk_f16 v64, v69, 0x3b9c, v51
	v_fmac_f16_e32 v51, 0xbb9c, v69
	v_fmac_f16_e32 v55, 0x38b4, v40
	;; [unrolled: 1-line block ×3, first 2 shown]
	v_add_f16_e32 v52, v85, v86
	v_fmac_f16_e32 v58, 0x38b4, v61
	v_fmac_f16_e32 v43, 0xb8b4, v61
	;; [unrolled: 1-line block ×10, first 2 shown]
	s_waitcnt lgkmcnt(0)
	s_barrier
	buffer_gl0_inv
	ds_write_b16 v25, v27
	ds_write_b16 v25, v55 offset:102
	ds_write_b16 v25, v56 offset:204
	ds_write_b16 v25, v34 offset:306
	ds_write_b16 v25, v32 offset:408
	ds_write_b16 v29, v28
	ds_write_b16 v29, v58 offset:102
	ds_write_b16 v29, v62 offset:204
	ds_write_b16 v29, v37 offset:306
	ds_write_b16 v29, v43 offset:408
	;; [unrolled: 5-line block ×3, first 2 shown]
	s_waitcnt lgkmcnt(0)
	s_barrier
	buffer_gl0_inv
	s_and_saveexec_b32 s0, vcc_lo
	s_cbranch_execz .LBB0_16
; %bb.15:
	v_lshlrev_b32_e32 v4, 2, v9
	v_mov_b32_e32 v1, v5
	v_lshlrev_b64 v[25:26], 2, v[4:5]
	v_lshlrev_b32_e32 v4, 2, v8
	v_lshlrev_b64 v[29:30], 2, v[4:5]
	v_lshlrev_b32_e32 v4, 2, v0
	v_add_co_u32 v25, vcc_lo, s8, v25
	v_add_co_ci_u32_e32 v26, vcc_lo, s9, v26, vcc_lo
	v_lshlrev_b64 v[33:34], 2, v[4:5]
	v_add_co_u32 v29, vcc_lo, s8, v29
	global_load_dwordx4 v[25:28], v[25:26], off offset:952
	v_add_co_ci_u32_e32 v30, vcc_lo, s9, v30, vcc_lo
	v_add_co_u32 v33, vcc_lo, s8, v33
	v_add_co_ci_u32_e32 v34, vcc_lo, s9, v34, vcc_lo
	global_load_dwordx4 v[29:32], v[29:30], off offset:952
	v_mul_hi_u32 v4, 0x80808081, v8
	v_lshlrev_b64 v[0:1], 2, v[0:1]
	global_load_dwordx4 v[33:36], v[33:34], off offset:952
	ds_read_u16 v47, v6 offset:1360
	ds_read_u16 v48, v6 offset:1190
	;; [unrolled: 1-line block ×14, first 2 shown]
	ds_read_u16 v61, v7
	v_mul_hi_u32 v8, 0x80808081, v9
	v_add_co_u32 v2, vcc_lo, s2, v2
	v_lshrrev_b32_e32 v4, 7, v4
	v_add_co_ci_u32_e32 v3, vcc_lo, s3, v3, vcc_lo
	v_add_co_u32 v0, vcc_lo, v2, v0
	v_mul_u32_u24_e32 v4, 0x3fc, v4
	v_add_co_ci_u32_e32 v1, vcc_lo, v3, v1, vcc_lo
	v_lshrrev_b32_e32 v8, 7, v8
	v_add_co_u32 v6, vcc_lo, 0x800, v0
	v_lshlrev_b64 v[2:3], 2, v[4:5]
	v_add_co_ci_u32_e32 v7, vcc_lo, 0, v1, vcc_lo
	v_mul_u32_u24_e32 v4, 0x3fc, v8
	v_add_co_u32 v2, vcc_lo, v0, v2
	v_add_co_ci_u32_e32 v3, vcc_lo, v1, v3, vcc_lo
	v_lshlrev_b64 v[4:5], 2, v[4:5]
	v_add_co_u32 v8, vcc_lo, 0x154, v2
	v_add_co_ci_u32_e32 v9, vcc_lo, 0, v3, vcc_lo
	v_add_co_u32 v37, vcc_lo, 0x800, v2
	v_add_co_ci_u32_e32 v38, vcc_lo, 0, v3, vcc_lo
	;; [unrolled: 2-line block ×7, first 2 shown]
	s_waitcnt vmcnt(2)
	v_mul_f16_sdwa v62, v24, v26 dst_sel:DWORD dst_unused:UNUSED_PAD src0_sel:DWORD src1_sel:WORD_1
	v_mul_f16_sdwa v63, v21, v25 dst_sel:DWORD dst_unused:UNUSED_PAD src0_sel:DWORD src1_sel:WORD_1
	;; [unrolled: 1-line block ×4, first 2 shown]
	s_waitcnt lgkmcnt(14)
	v_mul_f16_sdwa v66, v47, v26 dst_sel:DWORD dst_unused:UNUSED_PAD src0_sel:DWORD src1_sel:WORD_1
	s_waitcnt lgkmcnt(5)
	v_mul_f16_sdwa v67, v56, v27 dst_sel:DWORD dst_unused:UNUSED_PAD src0_sel:DWORD src1_sel:WORD_1
	v_mul_f16_sdwa v68, v50, v25 dst_sel:DWORD dst_unused:UNUSED_PAD src0_sel:DWORD src1_sel:WORD_1
	;; [unrolled: 1-line block ×3, first 2 shown]
	v_fma_f16 v47, v47, v26, -v62
	v_fma_f16 v50, v50, v25, -v63
	v_fma_f16 v56, v56, v27, -v64
	v_fma_f16 v53, v53, v28, -v65
	v_fmac_f16_e32 v66, v24, v26
	v_fmac_f16_e32 v67, v23, v27
	v_fmac_f16_e32 v68, v21, v25
	v_fmac_f16_e32 v69, v22, v28
	s_waitcnt vmcnt(1)
	v_mul_f16_sdwa v21, v18, v30 dst_sel:DWORD dst_unused:UNUSED_PAD src0_sel:DWORD src1_sel:WORD_1
	v_mul_f16_sdwa v22, v17, v29 dst_sel:DWORD dst_unused:UNUSED_PAD src0_sel:DWORD src1_sel:WORD_1
	;; [unrolled: 1-line block ×5, first 2 shown]
	s_waitcnt lgkmcnt(4)
	v_mul_f16_sdwa v26, v57, v31 dst_sel:DWORD dst_unused:UNUSED_PAD src0_sel:DWORD src1_sel:WORD_1
	v_mul_f16_sdwa v27, v51, v29 dst_sel:DWORD dst_unused:UNUSED_PAD src0_sel:DWORD src1_sel:WORD_1
	;; [unrolled: 1-line block ×3, first 2 shown]
	v_sub_f16_e32 v62, v47, v50
	v_sub_f16_e32 v63, v56, v53
	v_add_f16_e32 v65, v50, v53
	v_sub_f16_e32 v70, v68, v69
	v_sub_f16_e32 v71, v50, v47
	;; [unrolled: 1-line block ×3, first 2 shown]
	v_add_f16_e32 v73, v47, v56
	s_waitcnt lgkmcnt(2)
	v_add_f16_e32 v74, v50, v59
	v_sub_f16_e32 v75, v66, v68
	v_sub_f16_e32 v76, v67, v69
	v_add_f16_e32 v77, v68, v69
	v_sub_f16_e32 v79, v68, v66
	v_sub_f16_e32 v80, v69, v67
	v_add_f16_e32 v81, v66, v67
	v_add_f16_e32 v68, v16, v68
	v_fma_f16 v21, v48, v30, -v21
	v_fma_f16 v22, v51, v29, -v22
	;; [unrolled: 1-line block ×4, first 2 shown]
	v_fmac_f16_e32 v25, v18, v30
	v_fmac_f16_e32 v26, v19, v31
	;; [unrolled: 1-line block ×4, first 2 shown]
	s_waitcnt vmcnt(0)
	v_mul_f16_sdwa v17, v13, v33 dst_sel:DWORD dst_unused:UNUSED_PAD src0_sel:DWORD src1_sel:WORD_1
	v_mul_f16_sdwa v18, v12, v34 dst_sel:DWORD dst_unused:UNUSED_PAD src0_sel:DWORD src1_sel:WORD_1
	;; [unrolled: 1-line block ×8, first 2 shown]
	v_sub_f16_e32 v64, v66, v67
	v_sub_f16_e32 v78, v47, v56
	v_add_f16_e32 v48, v62, v63
	v_fma_f16 v51, -0.5, v65, v59
	v_add_f16_e32 v54, v71, v72
	v_fma_f16 v57, -0.5, v73, v59
	v_add_f16_e32 v47, v47, v74
	v_add_f16_e32 v59, v75, v76
	v_fma_f16 v62, -0.5, v77, v16
	v_add_f16_e32 v63, v79, v80
	v_fma_f16 v16, -0.5, v81, v16
	v_add_f16_e32 v65, v66, v68
	v_sub_f16_e32 v66, v21, v22
	v_sub_f16_e32 v68, v23, v24
	v_add_f16_e32 v72, v22, v24
	v_sub_f16_e32 v73, v27, v28
	v_sub_f16_e32 v74, v25, v27
	;; [unrolled: 1-line block ×4, first 2 shown]
	v_add_f16_e32 v77, v27, v28
	v_sub_f16_e32 v80, v22, v21
	v_sub_f16_e32 v81, v24, v23
	v_add_f16_e32 v82, v21, v23
	v_sub_f16_e32 v83, v27, v25
	v_sub_f16_e32 v84, v28, v26
	s_waitcnt lgkmcnt(1)
	v_add_f16_e32 v22, v22, v60
	v_add_f16_e32 v27, v11, v27
	v_fma_f16 v17, v52, v33, -v17
	v_fma_f16 v18, v49, v34, -v18
	;; [unrolled: 1-line block ×4, first 2 shown]
	v_fmac_f16_e32 v29, v13, v33
	v_fmac_f16_e32 v30, v15, v36
	;; [unrolled: 1-line block ×4, first 2 shown]
	v_add_f16_e32 v85, v25, v26
	v_sub_f16_e32 v71, v25, v26
	v_sub_f16_e32 v79, v21, v23
	v_add_f16_e32 v14, v56, v47
	v_add_f16_e32 v35, v66, v68
	v_fma_f16 v36, -0.5, v72, v60
	v_add_f16_e32 v47, v74, v75
	v_add_f16_e32 v52, v80, v81
	v_fma_f16 v55, -0.5, v82, v60
	v_add_f16_e32 v56, v83, v84
	v_add_f16_e32 v21, v21, v22
	;; [unrolled: 1-line block ×3, first 2 shown]
	v_sub_f16_e32 v25, v17, v18
	v_sub_f16_e32 v27, v19, v20
	v_add_f16_e32 v58, v18, v20
	v_sub_f16_e32 v60, v29, v30
	v_sub_f16_e32 v66, v29, v31
	v_add_f16_e32 v68, v31, v32
	;; [unrolled: 3-line block ×3, first 2 shown]
	v_sub_f16_e32 v81, v31, v29
	v_add_f16_e32 v83, v29, v30
	s_waitcnt lgkmcnt(0)
	v_add_f16_e32 v17, v17, v61
	v_add_f16_e32 v29, v10, v29
	v_fmamk_f16 v13, v70, 0xbb9c, v57
	v_fmac_f16_e32 v57, 0x3b9c, v70
	v_add_f16_e32 v34, v65, v67
	v_fma_f16 v49, -0.5, v77, v11
	v_fma_f16 v11, -0.5, v85, v11
	v_sub_f16_e32 v50, v50, v53
	v_fmamk_f16 v12, v64, 0x3b9c, v51
	v_fmamk_f16 v15, v78, 0xbb9c, v62
	v_sub_f16_e32 v74, v18, v20
	v_add_f16_e32 v21, v23, v21
	v_add_f16_e32 v22, v22, v26
	;; [unrolled: 1-line block ×3, first 2 shown]
	v_fma_f16 v25, -0.5, v58, v61
	v_fma_f16 v27, -0.5, v68, v10
	v_add_f16_e32 v17, v18, v17
	v_add_f16_e32 v18, v29, v31
	v_sub_f16_e32 v65, v31, v32
	v_fma_f16 v61, -0.5, v80, v61
	v_fma_f16 v10, -0.5, v83, v10
	v_fmac_f16_e32 v51, 0xbb9c, v64
	v_fmac_f16_e32 v62, 0x3b9c, v78
	v_fmac_f16_e32 v13, 0xb8b4, v64
	v_fmac_f16_e32 v57, 0x38b4, v64
	v_add_f16_e32 v34, v34, v69
	v_fmamk_f16 v64, v73, 0x3b9c, v55
	v_fmamk_f16 v69, v76, 0xbb9c, v11
	v_fmac_f16_e32 v55, 0xbb9c, v73
	v_fmac_f16_e32 v11, 0x3b9c, v76
	v_sub_f16_e32 v67, v30, v32
	v_fmac_f16_e32 v12, 0xb8b4, v70
	v_fmac_f16_e32 v15, 0x38b4, v50
	v_add_f16_e32 v21, v24, v21
	v_add_f16_e32 v22, v22, v28
	v_fmamk_f16 v24, v60, 0xbb9c, v25
	v_fmamk_f16 v28, v72, 0x3b9c, v27
	v_fmac_f16_e32 v25, 0x3b9c, v60
	v_fmac_f16_e32 v27, 0xbb9c, v72
	v_add_f16_e32 v17, v20, v17
	v_add_f16_e32 v18, v18, v32
	v_sub_f16_e32 v77, v20, v19
	v_sub_f16_e32 v82, v32, v30
	v_fmamk_f16 v29, v65, 0x3b9c, v61
	v_fmamk_f16 v31, v74, 0xbb9c, v10
	v_fmac_f16_e32 v61, 0xbb9c, v65
	v_fmac_f16_e32 v10, 0x3b9c, v74
	v_fmamk_f16 v33, v50, 0x3b9c, v16
	v_fmac_f16_e32 v16, 0xbb9c, v50
	v_add_f16_e32 v14, v53, v14
	v_fmac_f16_e32 v62, 0xb8b4, v50
	v_fmamk_f16 v50, v71, 0x3b9c, v36
	v_fmamk_f16 v53, v79, 0xbb9c, v49
	v_fmac_f16_e32 v36, 0xbb9c, v71
	v_fmac_f16_e32 v49, 0x3b9c, v79
	;; [unrolled: 1-line block ×4, first 2 shown]
	v_add_f16_e32 v26, v66, v67
	v_fmac_f16_e32 v12, 0x34f2, v48
	v_fmac_f16_e32 v15, 0x34f2, v59
	;; [unrolled: 1-line block ×4, first 2 shown]
	v_add_f16_e32 v17, v19, v17
	v_add_f16_e32 v18, v30, v18
	;; [unrolled: 1-line block ×4, first 2 shown]
	v_fmac_f16_e32 v61, 0x38b4, v60
	v_fmac_f16_e32 v10, 0xb8b4, v72
	;; [unrolled: 1-line block ×17, first 2 shown]
	v_pack_b32_f16 v12, v15, v12
	v_fmac_f16_e32 v25, 0x34f2, v23
	v_fmac_f16_e32 v27, 0x34f2, v26
	v_pack_b32_f16 v15, v18, v17
	v_fmac_f16_e32 v61, 0x34f2, v58
	v_fmac_f16_e32 v10, 0x34f2, v66
	;; [unrolled: 1-line block ×18, first 2 shown]
	v_pack_b32_f16 v11, v11, v55
	global_store_dword v[0:1], v15, off
	v_pack_b32_f16 v15, v27, v25
	v_pack_b32_f16 v10, v10, v61
	;; [unrolled: 1-line block ×12, first 2 shown]
	global_store_dword v[39:40], v11, off offset:324
	global_store_dword v[0:1], v15, off offset:1020
	global_store_dword v[0:1], v10, off offset:2040
	global_store_dword v[6:7], v22, off offset:1012
	global_store_dword v[6:7], v23, off offset:2032
	global_store_dword v[2:3], v19, off offset:340
	global_store_dword v[2:3], v17, off offset:1360
	global_store_dword v[8:9], v18, off offset:2040
	global_store_dword v[37:38], v21, off offset:1352
	global_store_dword v[4:5], v14, off offset:680
	global_store_dword v[4:5], v16, off offset:1700
	global_store_dword v[41:42], v20, off offset:2040
	global_store_dword v[43:44], v12, off offset:1692
	global_store_dword v[45:46], v13, off offset:664
.LBB0_16:
	s_endpgm
	.section	.rodata,"a",@progbits
	.p2align	6, 0x0
	.amdhsa_kernel fft_rtc_back_len1275_factors_17_3_5_5_wgs_255_tpt_85_halfLds_half_ip_CI_unitstride_sbrr_dirReg
		.amdhsa_group_segment_fixed_size 0
		.amdhsa_private_segment_fixed_size 0
		.amdhsa_kernarg_size 88
		.amdhsa_user_sgpr_count 6
		.amdhsa_user_sgpr_private_segment_buffer 1
		.amdhsa_user_sgpr_dispatch_ptr 0
		.amdhsa_user_sgpr_queue_ptr 0
		.amdhsa_user_sgpr_kernarg_segment_ptr 1
		.amdhsa_user_sgpr_dispatch_id 0
		.amdhsa_user_sgpr_flat_scratch_init 0
		.amdhsa_user_sgpr_private_segment_size 0
		.amdhsa_wavefront_size32 1
		.amdhsa_uses_dynamic_stack 0
		.amdhsa_system_sgpr_private_segment_wavefront_offset 0
		.amdhsa_system_sgpr_workgroup_id_x 1
		.amdhsa_system_sgpr_workgroup_id_y 0
		.amdhsa_system_sgpr_workgroup_id_z 0
		.amdhsa_system_sgpr_workgroup_info 0
		.amdhsa_system_vgpr_workitem_id 0
		.amdhsa_next_free_vgpr 89
		.amdhsa_next_free_sgpr 21
		.amdhsa_reserve_vcc 1
		.amdhsa_reserve_flat_scratch 0
		.amdhsa_float_round_mode_32 0
		.amdhsa_float_round_mode_16_64 0
		.amdhsa_float_denorm_mode_32 3
		.amdhsa_float_denorm_mode_16_64 3
		.amdhsa_dx10_clamp 1
		.amdhsa_ieee_mode 1
		.amdhsa_fp16_overflow 0
		.amdhsa_workgroup_processor_mode 1
		.amdhsa_memory_ordered 1
		.amdhsa_forward_progress 0
		.amdhsa_shared_vgpr_count 0
		.amdhsa_exception_fp_ieee_invalid_op 0
		.amdhsa_exception_fp_denorm_src 0
		.amdhsa_exception_fp_ieee_div_zero 0
		.amdhsa_exception_fp_ieee_overflow 0
		.amdhsa_exception_fp_ieee_underflow 0
		.amdhsa_exception_fp_ieee_inexact 0
		.amdhsa_exception_int_div_zero 0
	.end_amdhsa_kernel
	.text
.Lfunc_end0:
	.size	fft_rtc_back_len1275_factors_17_3_5_5_wgs_255_tpt_85_halfLds_half_ip_CI_unitstride_sbrr_dirReg, .Lfunc_end0-fft_rtc_back_len1275_factors_17_3_5_5_wgs_255_tpt_85_halfLds_half_ip_CI_unitstride_sbrr_dirReg
                                        ; -- End function
	.section	.AMDGPU.csdata,"",@progbits
; Kernel info:
; codeLenInByte = 11420
; NumSgprs: 23
; NumVgprs: 89
; ScratchSize: 0
; MemoryBound: 0
; FloatMode: 240
; IeeeMode: 1
; LDSByteSize: 0 bytes/workgroup (compile time only)
; SGPRBlocks: 2
; VGPRBlocks: 11
; NumSGPRsForWavesPerEU: 23
; NumVGPRsForWavesPerEU: 89
; Occupancy: 10
; WaveLimiterHint : 1
; COMPUTE_PGM_RSRC2:SCRATCH_EN: 0
; COMPUTE_PGM_RSRC2:USER_SGPR: 6
; COMPUTE_PGM_RSRC2:TRAP_HANDLER: 0
; COMPUTE_PGM_RSRC2:TGID_X_EN: 1
; COMPUTE_PGM_RSRC2:TGID_Y_EN: 0
; COMPUTE_PGM_RSRC2:TGID_Z_EN: 0
; COMPUTE_PGM_RSRC2:TIDIG_COMP_CNT: 0
	.text
	.p2alignl 6, 3214868480
	.fill 48, 4, 3214868480
	.type	__hip_cuid_71a80dff88a2e4dd,@object ; @__hip_cuid_71a80dff88a2e4dd
	.section	.bss,"aw",@nobits
	.globl	__hip_cuid_71a80dff88a2e4dd
__hip_cuid_71a80dff88a2e4dd:
	.byte	0                               ; 0x0
	.size	__hip_cuid_71a80dff88a2e4dd, 1

	.ident	"AMD clang version 19.0.0git (https://github.com/RadeonOpenCompute/llvm-project roc-6.4.0 25133 c7fe45cf4b819c5991fe208aaa96edf142730f1d)"
	.section	".note.GNU-stack","",@progbits
	.addrsig
	.addrsig_sym __hip_cuid_71a80dff88a2e4dd
	.amdgpu_metadata
---
amdhsa.kernels:
  - .args:
      - .actual_access:  read_only
        .address_space:  global
        .offset:         0
        .size:           8
        .value_kind:     global_buffer
      - .offset:         8
        .size:           8
        .value_kind:     by_value
      - .actual_access:  read_only
        .address_space:  global
        .offset:         16
        .size:           8
        .value_kind:     global_buffer
      - .actual_access:  read_only
        .address_space:  global
        .offset:         24
        .size:           8
        .value_kind:     global_buffer
      - .offset:         32
        .size:           8
        .value_kind:     by_value
      - .actual_access:  read_only
        .address_space:  global
        .offset:         40
        .size:           8
        .value_kind:     global_buffer
      - .actual_access:  read_only
        .address_space:  global
        .offset:         48
        .size:           8
        .value_kind:     global_buffer
      - .offset:         56
        .size:           4
        .value_kind:     by_value
      - .actual_access:  read_only
        .address_space:  global
        .offset:         64
        .size:           8
        .value_kind:     global_buffer
      - .actual_access:  read_only
        .address_space:  global
        .offset:         72
        .size:           8
        .value_kind:     global_buffer
      - .address_space:  global
        .offset:         80
        .size:           8
        .value_kind:     global_buffer
    .group_segment_fixed_size: 0
    .kernarg_segment_align: 8
    .kernarg_segment_size: 88
    .language:       OpenCL C
    .language_version:
      - 2
      - 0
    .max_flat_workgroup_size: 255
    .name:           fft_rtc_back_len1275_factors_17_3_5_5_wgs_255_tpt_85_halfLds_half_ip_CI_unitstride_sbrr_dirReg
    .private_segment_fixed_size: 0
    .sgpr_count:     23
    .sgpr_spill_count: 0
    .symbol:         fft_rtc_back_len1275_factors_17_3_5_5_wgs_255_tpt_85_halfLds_half_ip_CI_unitstride_sbrr_dirReg.kd
    .uniform_work_group_size: 1
    .uses_dynamic_stack: false
    .vgpr_count:     89
    .vgpr_spill_count: 0
    .wavefront_size: 32
    .workgroup_processor_mode: 1
amdhsa.target:   amdgcn-amd-amdhsa--gfx1030
amdhsa.version:
  - 1
  - 2
...

	.end_amdgpu_metadata
